;; amdgpu-corpus repo=ROCm/rocFFT kind=compiled arch=gfx1030 opt=O3
	.text
	.amdgcn_target "amdgcn-amd-amdhsa--gfx1030"
	.amdhsa_code_object_version 6
	.protected	fft_rtc_fwd_len1323_factors_3_3_3_7_7_wgs_189_tpt_189_sp_op_CI_CI_unitstride_sbrr_dirReg ; -- Begin function fft_rtc_fwd_len1323_factors_3_3_3_7_7_wgs_189_tpt_189_sp_op_CI_CI_unitstride_sbrr_dirReg
	.globl	fft_rtc_fwd_len1323_factors_3_3_3_7_7_wgs_189_tpt_189_sp_op_CI_CI_unitstride_sbrr_dirReg
	.p2align	8
	.type	fft_rtc_fwd_len1323_factors_3_3_3_7_7_wgs_189_tpt_189_sp_op_CI_CI_unitstride_sbrr_dirReg,@function
fft_rtc_fwd_len1323_factors_3_3_3_7_7_wgs_189_tpt_189_sp_op_CI_CI_unitstride_sbrr_dirReg: ; @fft_rtc_fwd_len1323_factors_3_3_3_7_7_wgs_189_tpt_189_sp_op_CI_CI_unitstride_sbrr_dirReg
; %bb.0:
	s_clause 0x2
	s_load_dwordx4 s[12:15], s[4:5], 0x0
	s_load_dwordx4 s[8:11], s[4:5], 0x58
	;; [unrolled: 1-line block ×3, first 2 shown]
	v_mul_u32_u24_e32 v1, 0x15b, v0
	v_mov_b32_e32 v3, 0
	v_add_nc_u32_sdwa v5, s6, v1 dst_sel:DWORD dst_unused:UNUSED_PAD src0_sel:DWORD src1_sel:WORD_1
	v_mov_b32_e32 v1, 0
	v_mov_b32_e32 v6, v3
	v_mov_b32_e32 v2, 0
	s_waitcnt lgkmcnt(0)
	v_cmp_lt_u64_e64 s0, s[14:15], 2
	s_and_b32 vcc_lo, exec_lo, s0
	s_cbranch_vccnz .LBB0_8
; %bb.1:
	s_load_dwordx2 s[0:1], s[4:5], 0x10
	v_mov_b32_e32 v1, 0
	v_mov_b32_e32 v2, 0
	s_add_u32 s2, s18, 8
	s_addc_u32 s3, s19, 0
	s_add_u32 s6, s16, 8
	s_addc_u32 s7, s17, 0
	v_mov_b32_e32 v13, v2
	v_mov_b32_e32 v12, v1
	s_mov_b64 s[22:23], 1
	s_waitcnt lgkmcnt(0)
	s_add_u32 s20, s0, 8
	s_addc_u32 s21, s1, 0
.LBB0_2:                                ; =>This Inner Loop Header: Depth=1
	s_load_dwordx2 s[24:25], s[20:21], 0x0
                                        ; implicit-def: $vgpr14_vgpr15
	s_mov_b32 s0, exec_lo
	s_waitcnt lgkmcnt(0)
	v_or_b32_e32 v4, s25, v6
	v_cmpx_ne_u64_e32 0, v[3:4]
	s_xor_b32 s1, exec_lo, s0
	s_cbranch_execz .LBB0_4
; %bb.3:                                ;   in Loop: Header=BB0_2 Depth=1
	v_cvt_f32_u32_e32 v4, s24
	v_cvt_f32_u32_e32 v7, s25
	s_sub_u32 s0, 0, s24
	s_subb_u32 s26, 0, s25
	v_fmac_f32_e32 v4, 0x4f800000, v7
	v_rcp_f32_e32 v4, v4
	v_mul_f32_e32 v4, 0x5f7ffffc, v4
	v_mul_f32_e32 v7, 0x2f800000, v4
	v_trunc_f32_e32 v7, v7
	v_fmac_f32_e32 v4, 0xcf800000, v7
	v_cvt_u32_f32_e32 v7, v7
	v_cvt_u32_f32_e32 v4, v4
	v_mul_lo_u32 v8, s0, v7
	v_mul_hi_u32 v9, s0, v4
	v_mul_lo_u32 v10, s26, v4
	v_add_nc_u32_e32 v8, v9, v8
	v_mul_lo_u32 v9, s0, v4
	v_add_nc_u32_e32 v8, v8, v10
	v_mul_hi_u32 v10, v4, v9
	v_mul_lo_u32 v11, v4, v8
	v_mul_hi_u32 v14, v4, v8
	v_mul_hi_u32 v15, v7, v9
	v_mul_lo_u32 v9, v7, v9
	v_mul_hi_u32 v16, v7, v8
	v_mul_lo_u32 v8, v7, v8
	v_add_co_u32 v10, vcc_lo, v10, v11
	v_add_co_ci_u32_e32 v11, vcc_lo, 0, v14, vcc_lo
	v_add_co_u32 v9, vcc_lo, v10, v9
	v_add_co_ci_u32_e32 v9, vcc_lo, v11, v15, vcc_lo
	v_add_co_ci_u32_e32 v10, vcc_lo, 0, v16, vcc_lo
	v_add_co_u32 v8, vcc_lo, v9, v8
	v_add_co_ci_u32_e32 v9, vcc_lo, 0, v10, vcc_lo
	v_add_co_u32 v4, vcc_lo, v4, v8
	v_add_co_ci_u32_e32 v7, vcc_lo, v7, v9, vcc_lo
	v_mul_hi_u32 v8, s0, v4
	v_mul_lo_u32 v10, s26, v4
	v_mul_lo_u32 v9, s0, v7
	v_add_nc_u32_e32 v8, v8, v9
	v_mul_lo_u32 v9, s0, v4
	v_add_nc_u32_e32 v8, v8, v10
	v_mul_hi_u32 v10, v4, v9
	v_mul_lo_u32 v11, v4, v8
	v_mul_hi_u32 v14, v4, v8
	v_mul_hi_u32 v15, v7, v9
	v_mul_lo_u32 v9, v7, v9
	v_mul_hi_u32 v16, v7, v8
	v_mul_lo_u32 v8, v7, v8
	v_add_co_u32 v10, vcc_lo, v10, v11
	v_add_co_ci_u32_e32 v11, vcc_lo, 0, v14, vcc_lo
	v_add_co_u32 v9, vcc_lo, v10, v9
	v_add_co_ci_u32_e32 v9, vcc_lo, v11, v15, vcc_lo
	v_add_co_ci_u32_e32 v10, vcc_lo, 0, v16, vcc_lo
	v_add_co_u32 v8, vcc_lo, v9, v8
	v_add_co_ci_u32_e32 v9, vcc_lo, 0, v10, vcc_lo
	v_add_co_u32 v4, vcc_lo, v4, v8
	v_add_co_ci_u32_e32 v11, vcc_lo, v7, v9, vcc_lo
	v_mul_hi_u32 v16, v5, v4
	v_mad_u64_u32 v[9:10], null, v6, v4, 0
	v_mad_u64_u32 v[7:8], null, v5, v11, 0
	;; [unrolled: 1-line block ×3, first 2 shown]
	v_add_co_u32 v4, vcc_lo, v16, v7
	v_add_co_ci_u32_e32 v7, vcc_lo, 0, v8, vcc_lo
	v_add_co_u32 v4, vcc_lo, v4, v9
	v_add_co_ci_u32_e32 v4, vcc_lo, v7, v10, vcc_lo
	v_add_co_ci_u32_e32 v7, vcc_lo, 0, v15, vcc_lo
	v_add_co_u32 v4, vcc_lo, v4, v14
	v_add_co_ci_u32_e32 v9, vcc_lo, 0, v7, vcc_lo
	v_mul_lo_u32 v10, s25, v4
	v_mad_u64_u32 v[7:8], null, s24, v4, 0
	v_mul_lo_u32 v11, s24, v9
	v_sub_co_u32 v7, vcc_lo, v5, v7
	v_add3_u32 v8, v8, v11, v10
	v_sub_nc_u32_e32 v10, v6, v8
	v_subrev_co_ci_u32_e64 v10, s0, s25, v10, vcc_lo
	v_add_co_u32 v11, s0, v4, 2
	v_add_co_ci_u32_e64 v14, s0, 0, v9, s0
	v_sub_co_u32 v15, s0, v7, s24
	v_sub_co_ci_u32_e32 v8, vcc_lo, v6, v8, vcc_lo
	v_subrev_co_ci_u32_e64 v10, s0, 0, v10, s0
	v_cmp_le_u32_e32 vcc_lo, s24, v15
	v_cmp_eq_u32_e64 s0, s25, v8
	v_cndmask_b32_e64 v15, 0, -1, vcc_lo
	v_cmp_le_u32_e32 vcc_lo, s25, v10
	v_cndmask_b32_e64 v16, 0, -1, vcc_lo
	v_cmp_le_u32_e32 vcc_lo, s24, v7
	;; [unrolled: 2-line block ×3, first 2 shown]
	v_cndmask_b32_e64 v17, 0, -1, vcc_lo
	v_cmp_eq_u32_e32 vcc_lo, s25, v10
	v_cndmask_b32_e64 v7, v17, v7, s0
	v_cndmask_b32_e32 v10, v16, v15, vcc_lo
	v_add_co_u32 v15, vcc_lo, v4, 1
	v_add_co_ci_u32_e32 v16, vcc_lo, 0, v9, vcc_lo
	v_cmp_ne_u32_e32 vcc_lo, 0, v10
	v_cndmask_b32_e32 v8, v16, v14, vcc_lo
	v_cndmask_b32_e32 v10, v15, v11, vcc_lo
	v_cmp_ne_u32_e32 vcc_lo, 0, v7
	v_cndmask_b32_e32 v15, v9, v8, vcc_lo
	v_cndmask_b32_e32 v14, v4, v10, vcc_lo
.LBB0_4:                                ;   in Loop: Header=BB0_2 Depth=1
	s_andn2_saveexec_b32 s0, s1
	s_cbranch_execz .LBB0_6
; %bb.5:                                ;   in Loop: Header=BB0_2 Depth=1
	v_cvt_f32_u32_e32 v4, s24
	s_sub_i32 s1, 0, s24
	v_mov_b32_e32 v15, v3
	v_rcp_iflag_f32_e32 v4, v4
	v_mul_f32_e32 v4, 0x4f7ffffe, v4
	v_cvt_u32_f32_e32 v4, v4
	v_mul_lo_u32 v7, s1, v4
	v_mul_hi_u32 v7, v4, v7
	v_add_nc_u32_e32 v4, v4, v7
	v_mul_hi_u32 v4, v5, v4
	v_mul_lo_u32 v7, v4, s24
	v_add_nc_u32_e32 v8, 1, v4
	v_sub_nc_u32_e32 v7, v5, v7
	v_subrev_nc_u32_e32 v9, s24, v7
	v_cmp_le_u32_e32 vcc_lo, s24, v7
	v_cndmask_b32_e32 v7, v7, v9, vcc_lo
	v_cndmask_b32_e32 v4, v4, v8, vcc_lo
	v_cmp_le_u32_e32 vcc_lo, s24, v7
	v_add_nc_u32_e32 v8, 1, v4
	v_cndmask_b32_e32 v14, v4, v8, vcc_lo
.LBB0_6:                                ;   in Loop: Header=BB0_2 Depth=1
	s_or_b32 exec_lo, exec_lo, s0
	v_mul_lo_u32 v4, v15, s24
	v_mul_lo_u32 v9, v14, s25
	s_load_dwordx2 s[0:1], s[6:7], 0x0
	v_mad_u64_u32 v[7:8], null, v14, s24, 0
	s_load_dwordx2 s[24:25], s[2:3], 0x0
	s_add_u32 s22, s22, 1
	s_addc_u32 s23, s23, 0
	s_add_u32 s2, s2, 8
	s_addc_u32 s3, s3, 0
	s_add_u32 s6, s6, 8
	v_add3_u32 v4, v8, v9, v4
	v_sub_co_u32 v5, vcc_lo, v5, v7
	s_addc_u32 s7, s7, 0
	s_add_u32 s20, s20, 8
	v_sub_co_ci_u32_e32 v4, vcc_lo, v6, v4, vcc_lo
	s_addc_u32 s21, s21, 0
	s_waitcnt lgkmcnt(0)
	v_mul_lo_u32 v6, s0, v4
	v_mul_lo_u32 v7, s1, v5
	v_mad_u64_u32 v[1:2], null, s0, v5, v[1:2]
	v_mul_lo_u32 v4, s24, v4
	v_mul_lo_u32 v8, s25, v5
	v_mad_u64_u32 v[12:13], null, s24, v5, v[12:13]
	v_cmp_ge_u64_e64 s0, s[22:23], s[14:15]
	v_add3_u32 v2, v7, v2, v6
	v_add3_u32 v13, v8, v13, v4
	s_and_b32 vcc_lo, exec_lo, s0
	s_cbranch_vccnz .LBB0_9
; %bb.7:                                ;   in Loop: Header=BB0_2 Depth=1
	v_mov_b32_e32 v5, v14
	v_mov_b32_e32 v6, v15
	s_branch .LBB0_2
.LBB0_8:
	v_mov_b32_e32 v13, v2
	v_mov_b32_e32 v15, v6
	;; [unrolled: 1-line block ×4, first 2 shown]
.LBB0_9:
	s_load_dwordx2 s[0:1], s[4:5], 0x28
	v_mul_hi_u32 v4, 0x15ac057, v0
	s_lshl_b64 s[4:5], s[14:15], 3
                                        ; implicit-def: $sgpr6
                                        ; implicit-def: $vgpr29
	s_add_u32 s2, s18, s4
	s_addc_u32 s3, s19, s5
	s_waitcnt lgkmcnt(0)
	v_cmp_gt_u64_e32 vcc_lo, s[0:1], v[14:15]
	v_cmp_le_u64_e64 s0, s[0:1], v[14:15]
	s_and_saveexec_b32 s1, s0
	s_xor_b32 s0, exec_lo, s1
; %bb.10:
	v_mul_u32_u24_e32 v1, 0xbd, v4
	s_mov_b32 s6, 0
                                        ; implicit-def: $vgpr4
	v_sub_nc_u32_e32 v29, v0, v1
                                        ; implicit-def: $vgpr0
                                        ; implicit-def: $vgpr1_vgpr2
; %bb.11:
	s_or_saveexec_b32 s1, s0
	s_load_dwordx2 s[2:3], s[2:3], 0x0
	v_mov_b32_e32 v16, s6
                                        ; implicit-def: $vgpr3
                                        ; implicit-def: $vgpr24
                                        ; implicit-def: $vgpr22
                                        ; implicit-def: $vgpr18
                                        ; implicit-def: $vgpr7
                                        ; implicit-def: $vgpr11
                                        ; implicit-def: $vgpr9
                                        ; implicit-def: $vgpr20
                                        ; implicit-def: $vgpr5
	s_xor_b32 exec_lo, exec_lo, s1
	s_cbranch_execz .LBB0_15
; %bb.12:
	s_add_u32 s4, s16, s4
	s_addc_u32 s5, s17, s5
	v_lshlrev_b64 v[1:2], 3, v[1:2]
	s_load_dwordx2 s[4:5], s[4:5], 0x0
                                        ; implicit-def: $vgpr8
                                        ; implicit-def: $vgpr10
	s_waitcnt lgkmcnt(0)
	v_mul_lo_u32 v3, s5, v14
	v_mul_lo_u32 v7, s4, v15
	v_mad_u64_u32 v[5:6], null, s4, v14, 0
	s_mov_b32 s4, exec_lo
	v_add3_u32 v6, v6, v7, v3
	v_mul_u32_u24_e32 v7, 0xbd, v4
	v_lshlrev_b64 v[3:4], 3, v[5:6]
	v_sub_nc_u32_e32 v29, v0, v7
	v_add_co_u32 v0, s0, s8, v3
	v_add_co_ci_u32_e64 v3, s0, s9, v4, s0
	v_lshlrev_b32_e32 v4, 3, v29
	v_add_co_u32 v0, s0, v0, v1
	v_add_co_ci_u32_e64 v1, s0, v3, v2, s0
	v_add_co_u32 v4, s0, v0, v4
	v_add_co_ci_u32_e64 v5, s0, 0, v1, s0
	;; [unrolled: 2-line block ×6, first 2 shown]
	s_clause 0x5
	global_load_dwordx2 v[2:3], v[4:5], off
	global_load_dwordx2 v[21:22], v[25:26], off offset:912
	global_load_dwordx2 v[23:24], v[0:1], off offset:1480
	;; [unrolled: 1-line block ×5, first 2 shown]
                                        ; implicit-def: $vgpr6
	v_cmpx_gt_u32_e32 63, v29
; %bb.13:
	s_clause 0x2
	global_load_dwordx2 v[8:9], v[0:1], off offset:976
	global_load_dwordx2 v[10:11], v[25:26], off offset:408
	;; [unrolled: 1-line block ×3, first 2 shown]
; %bb.14:
	s_or_b32 exec_lo, exec_lo, s4
	v_mov_b32_e32 v16, v29
.LBB0_15:
	s_or_b32 exec_lo, exec_lo, s1
	s_waitcnt vmcnt(3)
	v_add_f32_e32 v0, v23, v21
	v_add_f32_e32 v1, v2, v23
	v_sub_f32_e32 v25, v24, v22
	v_add_f32_e32 v26, v24, v22
	v_add_f32_e32 v24, v3, v24
	v_fmac_f32_e32 v2, -0.5, v0
	v_sub_f32_e32 v27, v23, v21
	v_add_f32_e32 v0, v1, v21
	v_fmac_f32_e32 v3, -0.5, v26
	v_add_f32_e32 v1, v24, v22
	s_waitcnt vmcnt(1)
	v_add_f32_e32 v21, v4, v17
	s_waitcnt vmcnt(0)
	v_sub_f32_e32 v22, v18, v20
	v_add_f32_e32 v26, v20, v18
	v_add_f32_e32 v18, v5, v18
	;; [unrolled: 1-line block ×3, first 2 shown]
	v_fmamk_f32 v23, v25, 0x3f5db3d7, v2
	v_fmac_f32_e32 v2, 0xbf5db3d7, v25
	v_add_f32_e32 v25, v19, v21
	v_fmac_f32_e32 v5, -0.5, v26
	v_sub_f32_e32 v17, v17, v19
	v_add_f32_e32 v26, v20, v18
	v_add_f32_e32 v18, v10, v8
	;; [unrolled: 1-line block ×4, first 2 shown]
	v_fmac_f32_e32 v4, -0.5, v28
	v_fmamk_f32 v28, v17, 0xbf5db3d7, v5
	v_fmac_f32_e32 v5, 0x3f5db3d7, v17
	v_add_f32_e32 v17, v6, v18
	v_fmac_f32_e32 v8, -0.5, v19
	v_sub_f32_e32 v18, v11, v7
	v_add_f32_e32 v11, v11, v9
	v_fmac_f32_e32 v9, -0.5, v20
	v_sub_f32_e32 v6, v10, v6
	v_mad_u32_u24 v21, v29, 24, 0
	v_fmamk_f32 v24, v27, 0xbf5db3d7, v3
	v_fmamk_f32 v10, v18, 0x3f5db3d7, v8
	v_fmac_f32_e32 v8, 0xbf5db3d7, v18
	v_add_f32_e32 v18, v7, v11
	v_fmamk_f32 v11, v6, 0xbf5db3d7, v9
	v_fmac_f32_e32 v9, 0x3f5db3d7, v6
	v_cmp_gt_u32_e64 s0, 63, v29
	v_fmac_f32_e32 v3, 0x3f5db3d7, v27
	v_fmamk_f32 v27, v22, 0x3f5db3d7, v4
	v_add_nc_u32_e32 v7, 0x11b8, v21
	v_fmac_f32_e32 v4, 0xbf5db3d7, v22
	ds_write2_b64 v21, v[0:1], v[23:24] offset1:1
	ds_write_b64 v21, v[2:3] offset:16
	ds_write2_b64 v7, v[25:26], v[27:28] offset1:1
	ds_write_b64 v21, v[4:5] offset:4552
	s_and_saveexec_b32 s1, s0
	s_cbranch_execz .LBB0_17
; %bb.16:
	v_add_nc_u32_e32 v0, 0x2370, v21
	ds_write2_b64 v0, v[17:18], v[10:11] offset1:1
	ds_write_b64 v21, v[8:9] offset:9088
.LBB0_17:
	s_or_b32 exec_lo, exec_lo, s1
	v_lshlrev_b32_e32 v22, 4, v29
	s_waitcnt lgkmcnt(0)
	s_barrier
	buffer_gl0_inv
	v_sub_nc_u32_e32 v0, v21, v22
	v_sub_nc_u32_e32 v22, 0, v22
	ds_read_b64 v[23:24], v0
	ds_read_b64 v[19:20], v0 offset:8568
	v_add_nc_u32_e32 v1, 0x5e0, v0
	v_add_nc_u32_e32 v4, 0x13a0, v0
	;; [unrolled: 1-line block ×3, first 2 shown]
	s_waitcnt lgkmcnt(1)
	ds_read_b32 v24, v0 offset:4
	ds_read2_b64 v[0:3], v1 offset0:1 offset1:253
	ds_read2_b64 v[4:7], v4 offset0:2 offset1:254
	s_and_saveexec_b32 s1, s0
	s_cbranch_execz .LBB0_19
; %bb.18:
	ds_read_b64 v[17:18], v25 offset:3024
	ds_read_b64 v[10:11], v25 offset:6552
	;; [unrolled: 1-line block ×3, first 2 shown]
.LBB0_19:
	s_or_b32 exec_lo, exec_lo, s1
	v_and_b32_e32 v26, 0xff, v29
	v_add_nc_u32_e32 v28, 0xbd, v29
	v_mov_b32_e32 v21, 0xaaab
	v_add_nc_u32_e32 v27, 0x17a, v29
	v_mov_b32_e32 v32, 4
	v_mul_lo_u16 v22, 0xab, v26
	v_mov_b32_e32 v47, 0x48
	v_mul_u32_u24_sdwa v30, v28, v21 dst_sel:DWORD dst_unused:UNUSED_PAD src0_sel:WORD_0 src1_sel:DWORD
	v_mul_u32_u24_sdwa v21, v27, v21 dst_sel:DWORD dst_unused:UNUSED_PAD src0_sel:WORD_0 src1_sel:DWORD
	v_lshrrev_b16 v22, 9, v22
	v_lshrrev_b32_e32 v45, 17, v30
	v_lshrrev_b32_e32 v30, 17, v21
	v_mul_lo_u16 v31, v22, 3
	v_mul_u32_u24_sdwa v22, v22, v47 dst_sel:DWORD dst_unused:UNUSED_PAD src0_sel:WORD_0 src1_sel:DWORD
	v_mul_lo_u16 v21, v45, 3
	v_mul_u32_u24_e32 v45, 0x48, v45
	v_sub_nc_u16 v46, v29, v31
	v_mul_lo_u16 v31, v30, 3
	v_sub_nc_u16 v21, v28, v21
	v_lshlrev_b32_sdwa v33, v32, v46 dst_sel:DWORD dst_unused:UNUSED_PAD src0_sel:DWORD src1_sel:BYTE_0
	v_sub_nc_u16 v31, v27, v31
	v_lshlrev_b32_sdwa v37, v32, v21 dst_sel:DWORD dst_unused:UNUSED_PAD src0_sel:DWORD src1_sel:WORD_0
	global_load_dwordx4 v[33:36], v33, s[12:13]
	v_lshlrev_b32_sdwa v32, v32, v31 dst_sel:DWORD dst_unused:UNUSED_PAD src0_sel:DWORD src1_sel:WORD_0
	s_clause 0x1
	global_load_dwordx4 v[37:40], v37, s[12:13]
	global_load_dwordx4 v[41:44], v32, s[12:13]
	v_mov_b32_e32 v32, 3
	s_waitcnt vmcnt(0) lgkmcnt(0)
	s_barrier
	buffer_gl0_inv
	v_lshlrev_b32_sdwa v46, v32, v46 dst_sel:DWORD dst_unused:UNUSED_PAD src0_sel:DWORD src1_sel:BYTE_0
	v_lshlrev_b32_sdwa v21, v32, v21 dst_sel:DWORD dst_unused:UNUSED_PAD src0_sel:DWORD src1_sel:WORD_0
	v_add3_u32 v46, 0, v22, v46
	v_add3_u32 v45, 0, v45, v21
	v_mul_f32_e32 v21, v34, v3
	v_mul_f32_e32 v22, v34, v2
	;; [unrolled: 1-line block ×12, first 2 shown]
	v_fma_f32 v2, v33, v2, -v21
	v_fmac_f32_e32 v22, v33, v3
	v_fma_f32 v3, v35, v6, -v34
	v_fmac_f32_e32 v36, v35, v7
	;; [unrolled: 2-line block ×6, first 2 shown]
	v_add_f32_e32 v9, v2, v3
	v_add_f32_e32 v19, v22, v36
	;; [unrolled: 1-line block ×3, first 2 shown]
	v_sub_f32_e32 v41, v42, v44
	v_add_f32_e32 v43, v18, v42
	v_add_f32_e32 v42, v42, v44
	v_sub_f32_e32 v10, v22, v36
	v_add_f32_e32 v11, v24, v22
	v_add_f32_e32 v22, v4, v5
	;; [unrolled: 1-line block ×4, first 2 shown]
	v_sub_f32_e32 v21, v2, v3
	v_add_f32_e32 v20, v0, v4
	v_sub_f32_e32 v33, v38, v40
	v_add_f32_e32 v34, v1, v38
	v_add_f32_e32 v38, v17, v6
	v_sub_f32_e32 v47, v6, v7
	v_fmac_f32_e32 v23, -0.5, v9
	v_fmac_f32_e32 v24, -0.5, v19
	;; [unrolled: 1-line block ×4, first 2 shown]
	v_sub_f32_e32 v37, v4, v5
	v_fma_f32 v0, -0.5, v22, v0
	v_fmac_f32_e32 v1, -0.5, v35
	v_add_f32_e32 v2, v8, v3
	v_add_f32_e32 v3, v11, v36
	;; [unrolled: 1-line block ×5, first 2 shown]
	v_fmamk_f32 v6, v10, 0x3f5db3d7, v23
	v_fmamk_f32 v7, v21, 0xbf5db3d7, v24
	v_fmac_f32_e32 v24, 0x3f5db3d7, v21
	v_fmamk_f32 v21, v41, 0x3f5db3d7, v17
	v_fmac_f32_e32 v17, 0xbf5db3d7, v41
	;; [unrolled: 2-line block ×3, first 2 shown]
	v_fmac_f32_e32 v23, 0xbf5db3d7, v10
	v_add_f32_e32 v5, v34, v40
	v_fmamk_f32 v8, v33, 0x3f5db3d7, v0
	v_fmamk_f32 v9, v37, 0xbf5db3d7, v1
	v_fmac_f32_e32 v0, 0xbf5db3d7, v33
	v_fmac_f32_e32 v1, 0x3f5db3d7, v37
	ds_write2_b64 v46, v[2:3], v[6:7] offset1:3
	ds_write_b64 v46, v[23:24] offset:48
	ds_write2_b64 v45, v[4:5], v[8:9] offset1:3
	ds_write_b64 v45, v[0:1] offset:48
	s_and_saveexec_b32 s1, s0
	s_cbranch_execz .LBB0_21
; %bb.20:
	v_mul_lo_u16 v0, v30, 9
	v_lshlrev_b32_sdwa v1, v32, v31 dst_sel:DWORD dst_unused:UNUSED_PAD src0_sel:DWORD src1_sel:WORD_0
	v_lshlrev_b32_sdwa v0, v32, v0 dst_sel:DWORD dst_unused:UNUSED_PAD src0_sel:DWORD src1_sel:WORD_0
	v_add3_u32 v0, 0, v1, v0
	ds_write2_b64 v0, v[19:20], v[21:22] offset1:3
	ds_write_b64 v0, v[17:18] offset:48
.LBB0_21:
	s_or_b32 exec_lo, exec_lo, s1
	v_add_nc_u32_e32 v4, 0xc00, v25
	v_add_nc_u32_e32 v5, 0x1a00, v25
	s_waitcnt lgkmcnt(0)
	s_barrier
	buffer_gl0_inv
	ds_read2_b64 v[0:3], v25 offset1:189
	ds_read2_b64 v[8:11], v4 offset0:57 offset1:246
	ds_read2_b64 v[4:7], v5 offset0:50 offset1:239
	v_lshl_add_u32 v23, v29, 3, 0
	s_and_saveexec_b32 s1, s0
	s_cbranch_execz .LBB0_23
; %bb.22:
	ds_read_b64 v[21:22], v25 offset:6552
	ds_read_b64 v[19:20], v23 offset:3024
	;; [unrolled: 1-line block ×3, first 2 shown]
.LBB0_23:
	s_or_b32 exec_lo, exec_lo, s1
	v_mul_lo_u16 v24, v26, 57
	v_mov_b32_e32 v30, 0xe38f
	v_mov_b32_e32 v31, 4
	;; [unrolled: 1-line block ×3, first 2 shown]
	v_lshrrev_b16 v40, 9, v24
	v_mul_u32_u24_sdwa v24, v28, v30 dst_sel:DWORD dst_unused:UNUSED_PAD src0_sel:WORD_0 src1_sel:DWORD
	v_mul_lo_u16 v32, v40, 9
	v_lshrrev_b32_e32 v41, 19, v24
	v_mul_u32_u24_sdwa v40, v40, v43 dst_sel:DWORD dst_unused:UNUSED_PAD src0_sel:WORD_0 src1_sel:DWORD
	v_sub_nc_u16 v42, v29, v32
	v_mul_lo_u16 v24, v41, 9
	v_mul_u32_u24_e32 v41, 0xd8, v41
	v_lshlrev_b32_sdwa v32, v31, v42 dst_sel:DWORD dst_unused:UNUSED_PAD src0_sel:DWORD src1_sel:BYTE_0
	v_sub_nc_u16 v28, v28, v24
	global_load_dwordx4 v[32:35], v32, s[12:13] offset:48
	v_lshlrev_b32_sdwa v24, v31, v28 dst_sel:DWORD dst_unused:UNUSED_PAD src0_sel:DWORD src1_sel:WORD_0
	global_load_dwordx4 v[36:39], v24, s[12:13] offset:48
	v_mov_b32_e32 v24, 3
	s_waitcnt vmcnt(0) lgkmcnt(0)
	s_barrier
	buffer_gl0_inv
	v_lshlrev_b32_sdwa v42, v24, v42 dst_sel:DWORD dst_unused:UNUSED_PAD src0_sel:DWORD src1_sel:BYTE_0
	v_lshlrev_b32_sdwa v28, v24, v28 dst_sel:DWORD dst_unused:UNUSED_PAD src0_sel:DWORD src1_sel:WORD_0
	v_add3_u32 v40, 0, v40, v42
	v_add3_u32 v28, 0, v41, v28
	v_mul_f32_e32 v42, v33, v9
	v_mul_f32_e32 v33, v33, v8
	;; [unrolled: 1-line block ×4, first 2 shown]
	v_fma_f32 v8, v32, v8, -v42
	v_fmac_f32_e32 v33, v32, v9
	v_mul_f32_e32 v9, v37, v11
	v_mul_f32_e32 v32, v37, v10
	;; [unrolled: 1-line block ×4, first 2 shown]
	v_fmac_f32_e32 v35, v34, v5
	v_fma_f32 v4, v34, v4, -v43
	v_fma_f32 v9, v36, v10, -v9
	v_fmac_f32_e32 v32, v36, v11
	v_fma_f32 v10, v38, v6, -v37
	v_fmac_f32_e32 v39, v38, v7
	v_add_f32_e32 v5, v8, v0
	v_sub_f32_e32 v7, v33, v35
	v_add_f32_e32 v11, v33, v1
	v_add_f32_e32 v33, v33, v35
	;; [unrolled: 1-line block ×3, first 2 shown]
	v_sub_f32_e32 v8, v8, v4
	v_add_f32_e32 v4, v5, v4
	v_add_f32_e32 v5, v11, v35
	v_fma_f32 v1, -0.5, v33, v1
	v_add_f32_e32 v33, v9, v10
	v_sub_f32_e32 v34, v32, v39
	v_add_f32_e32 v35, v3, v32
	v_add_f32_e32 v32, v32, v39
	v_fma_f32 v0, -0.5, v6, v0
	v_add_f32_e32 v11, v2, v9
	v_sub_f32_e32 v36, v9, v10
	v_fma_f32 v2, -0.5, v33, v2
	v_fmac_f32_e32 v3, -0.5, v32
	v_fmamk_f32 v6, v7, 0x3f5db3d7, v0
	v_fmac_f32_e32 v0, 0xbf5db3d7, v7
	v_fmamk_f32 v7, v8, 0xbf5db3d7, v1
	v_fmac_f32_e32 v1, 0x3f5db3d7, v8
	v_add_f32_e32 v8, v11, v10
	v_add_f32_e32 v9, v35, v39
	v_fmamk_f32 v10, v34, 0x3f5db3d7, v2
	v_fmamk_f32 v11, v36, 0xbf5db3d7, v3
	v_fmac_f32_e32 v2, 0xbf5db3d7, v34
	v_fmac_f32_e32 v3, 0x3f5db3d7, v36
	ds_write2_b64 v40, v[4:5], v[6:7] offset1:9
	ds_write_b64 v40, v[0:1] offset:144
	ds_write2_b64 v28, v[8:9], v[10:11] offset1:9
	ds_write_b64 v28, v[2:3] offset:144
	s_and_saveexec_b32 s1, s0
	s_cbranch_execz .LBB0_25
; %bb.24:
	v_mul_u32_u24_sdwa v0, v27, v30 dst_sel:DWORD dst_unused:UNUSED_PAD src0_sel:WORD_0 src1_sel:DWORD
	v_lshrrev_b32_e32 v4, 19, v0
	v_mul_lo_u16 v0, v4, 9
	v_mul_lo_u16 v4, v4, 27
	v_sub_nc_u16 v5, v27, v0
	v_lshlrev_b32_sdwa v4, v24, v4 dst_sel:DWORD dst_unused:UNUSED_PAD src0_sel:DWORD src1_sel:WORD_0
	v_lshlrev_b32_sdwa v0, v31, v5 dst_sel:DWORD dst_unused:UNUSED_PAD src0_sel:DWORD src1_sel:WORD_0
	global_load_dwordx4 v[0:3], v0, s[12:13] offset:48
	s_waitcnt vmcnt(0)
	v_mul_f32_e32 v6, v22, v1
	v_mul_f32_e32 v7, v21, v1
	;; [unrolled: 1-line block ×4, first 2 shown]
	v_lshlrev_b32_sdwa v3, v24, v5 dst_sel:DWORD dst_unused:UNUSED_PAD src0_sel:DWORD src1_sel:WORD_0
	v_fma_f32 v5, v21, v0, -v6
	v_fmac_f32_e32 v7, v22, v0
	v_fmac_f32_e32 v8, v18, v2
	v_fma_f32 v2, v17, v2, -v1
	v_add3_u32 v6, 0, v3, v4
	v_add_f32_e32 v9, v20, v7
	v_add_f32_e32 v0, v7, v8
	v_add_f32_e32 v3, v5, v2
	v_sub_f32_e32 v4, v5, v2
	v_add_f32_e32 v5, v19, v5
	v_sub_f32_e32 v7, v7, v8
	v_fma_f32 v1, -0.5, v0, v20
	v_fma_f32 v0, -0.5, v3, v19
	v_add_f32_e32 v3, v9, v8
	v_add_f32_e32 v2, v5, v2
	v_fmamk_f32 v5, v4, 0x3f5db3d7, v1
	v_fmac_f32_e32 v1, 0xbf5db3d7, v4
	v_fmamk_f32 v4, v7, 0xbf5db3d7, v0
	v_fmac_f32_e32 v0, 0x3f5db3d7, v7
	ds_write2_b64 v6, v[2:3], v[0:1] offset1:9
	ds_write_b64 v6, v[4:5] offset:144
.LBB0_25:
	s_or_b32 exec_lo, exec_lo, s1
	v_mul_lo_u16 v0, v26, 19
	v_mov_b32_e32 v1, 6
	s_waitcnt lgkmcnt(0)
	s_barrier
	buffer_gl0_inv
	v_lshrrev_b16 v21, 9, v0
	v_mov_b32_e32 v26, 0x5e8
	v_mul_lo_u16 v0, v21, 27
	v_mul_u32_u24_sdwa v21, v21, v26 dst_sel:DWORD dst_unused:UNUSED_PAD src0_sel:WORD_0 src1_sel:DWORD
	v_sub_nc_u16 v22, v29, v0
	v_mul_u32_u24_sdwa v0, v22, v1 dst_sel:DWORD dst_unused:UNUSED_PAD src0_sel:BYTE_0 src1_sel:DWORD
	v_add_nc_u32_e32 v1, 0x1c00, v25
	v_lshlrev_b32_sdwa v22, v24, v22 dst_sel:DWORD dst_unused:UNUSED_PAD src0_sel:DWORD src1_sel:BYTE_0
	v_lshlrev_b32_e32 v0, 3, v0
	s_clause 0x2
	global_load_dwordx4 v[2:5], v0, s[12:13] offset:192
	global_load_dwordx4 v[6:9], v0, s[12:13] offset:208
	;; [unrolled: 1-line block ×3, first 2 shown]
	v_add_nc_u32_e32 v0, 0x1000, v25
	ds_read2_b64 v[30:33], v25 offset1:189
	ds_read_b64 v[10:11], v23 offset:3024
	ds_read2_b64 v[38:41], v1 offset0:49 offset1:238
	v_add3_u32 v21, 0, v21, v22
	ds_read2_b64 v[34:37], v0 offset0:55 offset1:244
	s_waitcnt vmcnt(0) lgkmcnt(0)
	s_barrier
	buffer_gl0_inv
	v_mul_f32_e32 v22, v3, v33
	v_mul_f32_e32 v3, v3, v32
	;; [unrolled: 1-line block ×12, first 2 shown]
	v_fma_f32 v22, v2, v32, -v22
	v_fmac_f32_e32 v3, v2, v33
	v_fma_f32 v2, v4, v10, -v24
	v_fmac_f32_e32 v5, v4, v11
	;; [unrolled: 2-line block ×3, first 2 shown]
	v_fma_f32 v6, v8, v36, -v27
	v_fma_f32 v10, v19, v40, -v42
	v_fmac_f32_e32 v20, v19, v41
	v_fmac_f32_e32 v9, v8, v37
	v_fma_f32 v8, v17, v38, -v28
	v_fmac_f32_e32 v18, v17, v39
	v_add_f32_e32 v11, v22, v10
	v_add_f32_e32 v17, v3, v20
	v_sub_f32_e32 v3, v3, v20
	v_add_f32_e32 v19, v2, v8
	v_add_f32_e32 v20, v5, v18
	v_sub_f32_e32 v10, v22, v10
	v_sub_f32_e32 v2, v2, v8
	;; [unrolled: 1-line block ×3, first 2 shown]
	v_add_f32_e32 v8, v4, v6
	v_add_f32_e32 v18, v7, v9
	v_sub_f32_e32 v4, v6, v4
	v_sub_f32_e32 v6, v9, v7
	v_add_f32_e32 v7, v19, v11
	v_add_f32_e32 v9, v20, v17
	v_sub_f32_e32 v22, v19, v11
	v_sub_f32_e32 v24, v20, v17
	;; [unrolled: 1-line block ×6, first 2 shown]
	v_add_f32_e32 v26, v4, v2
	v_add_f32_e32 v27, v6, v5
	v_sub_f32_e32 v28, v4, v2
	v_sub_f32_e32 v32, v6, v5
	;; [unrolled: 1-line block ×3, first 2 shown]
	v_add_f32_e32 v7, v8, v7
	v_add_f32_e32 v8, v18, v9
	v_sub_f32_e32 v5, v5, v3
	v_sub_f32_e32 v4, v10, v4
	;; [unrolled: 1-line block ×3, first 2 shown]
	v_add_f32_e32 v9, v26, v10
	v_add_f32_e32 v10, v27, v3
	v_mul_f32_e32 v11, 0x3f4a47b2, v11
	v_mul_f32_e32 v17, 0x3f4a47b2, v17
	;; [unrolled: 1-line block ×7, first 2 shown]
	v_add_f32_e32 v2, v7, v30
	v_add_f32_e32 v3, v8, v31
	v_mul_f32_e32 v34, 0x3f5ff5aa, v5
	v_fmamk_f32 v19, v19, 0x3d64c772, v11
	v_fmamk_f32 v20, v20, 0x3d64c772, v17
	v_fma_f32 v18, 0x3f3bfb3b, v22, -v18
	v_fma_f32 v26, 0x3f3bfb3b, v24, -v26
	;; [unrolled: 1-line block ×4, first 2 shown]
	v_fmamk_f32 v22, v4, 0x3eae86e6, v27
	v_fmamk_f32 v24, v6, 0x3eae86e6, v28
	v_fma_f32 v28, 0x3f5ff5aa, v5, -v28
	v_fma_f32 v30, 0xbeae86e6, v4, -v32
	v_fmamk_f32 v4, v7, 0xbf955555, v2
	v_fmamk_f32 v5, v8, 0xbf955555, v3
	v_fma_f32 v27, 0x3f5ff5aa, v33, -v27
	v_fma_f32 v31, 0xbeae86e6, v6, -v34
	v_fmac_f32_e32 v22, 0x3ee1c552, v9
	v_fmac_f32_e32 v24, 0x3ee1c552, v10
	v_add_f32_e32 v19, v19, v4
	v_add_f32_e32 v20, v20, v5
	v_fmac_f32_e32 v27, 0x3ee1c552, v9
	v_fmac_f32_e32 v28, 0x3ee1c552, v10
	;; [unrolled: 1-line block ×4, first 2 shown]
	v_add_f32_e32 v10, v18, v4
	v_add_f32_e32 v18, v11, v4
	;; [unrolled: 1-line block ×5, first 2 shown]
	v_sub_f32_e32 v5, v20, v22
	v_add_f32_e32 v6, v31, v18
	v_sub_f32_e32 v7, v32, v30
	v_sub_f32_e32 v8, v10, v28
	v_add_f32_e32 v9, v27, v11
	v_add_f32_e32 v10, v28, v10
	v_sub_f32_e32 v11, v11, v27
	v_sub_f32_e32 v17, v18, v31
	v_add_f32_e32 v18, v30, v32
	v_sub_f32_e32 v19, v19, v24
	v_add_f32_e32 v20, v22, v20
	ds_write2_b64 v21, v[2:3], v[4:5] offset1:27
	ds_write2_b64 v21, v[6:7], v[8:9] offset0:54 offset1:81
	ds_write2_b64 v21, v[10:11], v[17:18] offset0:108 offset1:135
	ds_write_b64 v21, v[19:20] offset:1296
	s_waitcnt lgkmcnt(0)
	s_barrier
	buffer_gl0_inv
	s_and_saveexec_b32 s0, vcc_lo
	s_cbranch_execz .LBB0_27
; %bb.26:
	v_mul_u32_u24_e32 v2, 6, v29
	v_mul_lo_u32 v17, s3, v14
	v_mul_lo_u32 v15, s2, v15
	v_lshlrev_b64 v[12:13], 3, v[12:13]
	v_lshlrev_b32_e32 v10, 3, v2
	s_clause 0x2
	global_load_dwordx4 v[2:5], v10, s[12:13] offset:1488
	global_load_dwordx4 v[6:9], v10, s[12:13] offset:1520
	;; [unrolled: 1-line block ×3, first 2 shown]
	v_mad_u64_u32 v[10:11], null, s2, v14, 0
	ds_read2_b64 v[24:27], v25 offset1:189
	ds_read2_b64 v[28:31], v1 offset0:49 offset1:238
	v_add3_u32 v11, v11, v15, v17
	v_mov_b32_e32 v17, 0
	v_lshlrev_b64 v[10:11], 3, v[10:11]
	v_lshlrev_b64 v[14:15], 3, v[16:17]
	v_add_co_u32 v1, vcc_lo, s10, v10
	v_add_co_ci_u32_e32 v10, vcc_lo, s11, v11, vcc_lo
	v_add_co_u32 v1, vcc_lo, v1, v12
	v_add_co_ci_u32_e32 v16, vcc_lo, v10, v13, vcc_lo
	ds_read2_b64 v[10:13], v0 offset0:55 offset1:244
	v_add_co_u32 v0, vcc_lo, v1, v14
	v_add_co_ci_u32_e32 v1, vcc_lo, v16, v15, vcc_lo
	ds_read_b64 v[14:15], v23 offset:3024
	v_add_co_u32 v16, vcc_lo, 0x800, v0
	v_add_co_ci_u32_e32 v17, vcc_lo, 0, v1, vcc_lo
	v_add_co_u32 v22, vcc_lo, 0x1000, v0
	v_add_co_ci_u32_e32 v23, vcc_lo, 0, v1, vcc_lo
	;; [unrolled: 2-line block ×4, first 2 shown]
	s_waitcnt vmcnt(2) lgkmcnt(3)
	v_mul_f32_e32 v36, v3, v27
	s_waitcnt vmcnt(1) lgkmcnt(2)
	v_mul_f32_e32 v37, v9, v31
	s_waitcnt lgkmcnt(0)
	v_mul_f32_e32 v40, v5, v15
	v_mul_f32_e32 v41, v7, v29
	;; [unrolled: 1-line block ×6, first 2 shown]
	s_waitcnt vmcnt(0)
	v_mul_f32_e32 v38, v21, v13
	v_mul_f32_e32 v39, v19, v11
	;; [unrolled: 1-line block ×4, first 2 shown]
	v_fma_f32 v2, v2, v26, -v36
	v_fma_f32 v8, v8, v30, -v37
	;; [unrolled: 1-line block ×4, first 2 shown]
	v_fmac_f32_e32 v31, v9, v30
	v_fmac_f32_e32 v27, v3, v26
	;; [unrolled: 1-line block ×4, first 2 shown]
	v_fma_f32 v20, v20, v12, -v38
	v_fma_f32 v18, v18, v10, -v39
	v_fmac_f32_e32 v11, v19, v10
	v_fmac_f32_e32 v13, v21, v12
	v_sub_f32_e32 v3, v2, v8
	v_sub_f32_e32 v7, v4, v6
	v_add_f32_e32 v9, v27, v31
	v_add_f32_e32 v12, v15, v29
	;; [unrolled: 1-line block ×4, first 2 shown]
	v_sub_f32_e32 v5, v20, v18
	v_add_f32_e32 v10, v13, v11
	v_add_f32_e32 v8, v20, v18
	v_sub_f32_e32 v6, v27, v31
	v_sub_f32_e32 v11, v13, v11
	;; [unrolled: 1-line block ×3, first 2 shown]
	v_add_f32_e32 v20, v9, v12
	v_add_f32_e32 v27, v2, v4
	v_sub_f32_e32 v14, v3, v5
	v_sub_f32_e32 v15, v5, v7
	v_add_f32_e32 v5, v5, v7
	v_sub_f32_e32 v18, v9, v10
	v_sub_f32_e32 v19, v10, v12
	;; [unrolled: 1-line block ×6, first 2 shown]
	v_add_f32_e32 v11, v11, v13
	v_sub_f32_e32 v7, v7, v3
	v_sub_f32_e32 v9, v12, v9
	;; [unrolled: 1-line block ×3, first 2 shown]
	v_add_f32_e32 v10, v10, v20
	v_add_f32_e32 v8, v8, v27
	v_sub_f32_e32 v4, v4, v2
	v_mul_f32_e32 v13, 0xbf08b237, v15
	v_add_f32_e32 v5, v3, v5
	v_mul_f32_e32 v15, 0x3f4a47b2, v18
	v_mul_f32_e32 v19, 0x3d64c772, v19
	;; [unrolled: 1-line block ×5, first 2 shown]
	v_add_f32_e32 v6, v6, v11
	v_mul_f32_e32 v11, 0x3f5ff5aa, v7
	v_mul_f32_e32 v29, 0x3f5ff5aa, v12
	v_add_f32_e32 v3, v10, v25
	v_add_f32_e32 v2, v8, v24
	v_fmamk_f32 v30, v14, 0x3eae86e6, v13
	v_fmamk_f32 v18, v18, 0x3f4a47b2, v19
	;; [unrolled: 1-line block ×4, first 2 shown]
	v_fma_f32 v11, 0xbeae86e6, v14, -v11
	v_fma_f32 v14, 0xbf3bfb3b, v9, -v15
	;; [unrolled: 1-line block ×7, first 2 shown]
	v_fmamk_f32 v7, v10, 0xbf955555, v3
	v_fmamk_f32 v8, v8, 0xbf955555, v2
	v_fma_f32 v4, 0x3f3bfb3b, v4, -v26
	v_fmac_f32_e32 v30, 0x3ee1c552, v5
	v_fmac_f32_e32 v24, 0x3ee1c552, v6
	;; [unrolled: 1-line block ×6, first 2 shown]
	v_add_f32_e32 v6, v18, v7
	v_add_f32_e32 v10, v21, v8
	v_add_f32_e32 v12, v14, v7
	v_add_f32_e32 v9, v9, v7
	v_add_f32_e32 v14, v15, v8
	v_add_f32_e32 v4, v4, v8
	global_store_dwordx2 v[0:1], v[2:3], off
	v_add_f32_e32 v5, v11, v12
	v_sub_f32_e32 v7, v9, v13
	v_add_f32_e32 v9, v13, v9
	v_sub_f32_e32 v11, v12, v11
	v_sub_f32_e32 v13, v6, v30
	v_add_f32_e32 v12, v24, v10
	v_sub_f32_e32 v2, v10, v24
	v_add_f32_e32 v10, v20, v14
	v_sub_f32_e32 v8, v4, v19
	v_add_f32_e32 v3, v30, v6
	v_add_f32_e32 v6, v19, v4
	v_sub_f32_e32 v4, v14, v20
	global_store_dwordx2 v[0:1], v[12:13], off offset:1512
	global_store_dwordx2 v[16:17], v[10:11], off offset:976
	global_store_dwordx2 v[22:23], v[8:9], off offset:440
	global_store_dwordx2 v[22:23], v[6:7], off offset:1952
	global_store_dwordx2 v[32:33], v[4:5], off offset:1416
	global_store_dwordx2 v[34:35], v[2:3], off offset:880
.LBB0_27:
	s_endpgm
	.section	.rodata,"a",@progbits
	.p2align	6, 0x0
	.amdhsa_kernel fft_rtc_fwd_len1323_factors_3_3_3_7_7_wgs_189_tpt_189_sp_op_CI_CI_unitstride_sbrr_dirReg
		.amdhsa_group_segment_fixed_size 0
		.amdhsa_private_segment_fixed_size 0
		.amdhsa_kernarg_size 104
		.amdhsa_user_sgpr_count 6
		.amdhsa_user_sgpr_private_segment_buffer 1
		.amdhsa_user_sgpr_dispatch_ptr 0
		.amdhsa_user_sgpr_queue_ptr 0
		.amdhsa_user_sgpr_kernarg_segment_ptr 1
		.amdhsa_user_sgpr_dispatch_id 0
		.amdhsa_user_sgpr_flat_scratch_init 0
		.amdhsa_user_sgpr_private_segment_size 0
		.amdhsa_wavefront_size32 1
		.amdhsa_uses_dynamic_stack 0
		.amdhsa_system_sgpr_private_segment_wavefront_offset 0
		.amdhsa_system_sgpr_workgroup_id_x 1
		.amdhsa_system_sgpr_workgroup_id_y 0
		.amdhsa_system_sgpr_workgroup_id_z 0
		.amdhsa_system_sgpr_workgroup_info 0
		.amdhsa_system_vgpr_workitem_id 0
		.amdhsa_next_free_vgpr 51
		.amdhsa_next_free_sgpr 27
		.amdhsa_reserve_vcc 1
		.amdhsa_reserve_flat_scratch 0
		.amdhsa_float_round_mode_32 0
		.amdhsa_float_round_mode_16_64 0
		.amdhsa_float_denorm_mode_32 3
		.amdhsa_float_denorm_mode_16_64 3
		.amdhsa_dx10_clamp 1
		.amdhsa_ieee_mode 1
		.amdhsa_fp16_overflow 0
		.amdhsa_workgroup_processor_mode 1
		.amdhsa_memory_ordered 1
		.amdhsa_forward_progress 0
		.amdhsa_shared_vgpr_count 0
		.amdhsa_exception_fp_ieee_invalid_op 0
		.amdhsa_exception_fp_denorm_src 0
		.amdhsa_exception_fp_ieee_div_zero 0
		.amdhsa_exception_fp_ieee_overflow 0
		.amdhsa_exception_fp_ieee_underflow 0
		.amdhsa_exception_fp_ieee_inexact 0
		.amdhsa_exception_int_div_zero 0
	.end_amdhsa_kernel
	.text
.Lfunc_end0:
	.size	fft_rtc_fwd_len1323_factors_3_3_3_7_7_wgs_189_tpt_189_sp_op_CI_CI_unitstride_sbrr_dirReg, .Lfunc_end0-fft_rtc_fwd_len1323_factors_3_3_3_7_7_wgs_189_tpt_189_sp_op_CI_CI_unitstride_sbrr_dirReg
                                        ; -- End function
	.section	.AMDGPU.csdata,"",@progbits
; Kernel info:
; codeLenInByte = 5148
; NumSgprs: 29
; NumVgprs: 51
; ScratchSize: 0
; MemoryBound: 0
; FloatMode: 240
; IeeeMode: 1
; LDSByteSize: 0 bytes/workgroup (compile time only)
; SGPRBlocks: 3
; VGPRBlocks: 6
; NumSGPRsForWavesPerEU: 29
; NumVGPRsForWavesPerEU: 51
; Occupancy: 15
; WaveLimiterHint : 1
; COMPUTE_PGM_RSRC2:SCRATCH_EN: 0
; COMPUTE_PGM_RSRC2:USER_SGPR: 6
; COMPUTE_PGM_RSRC2:TRAP_HANDLER: 0
; COMPUTE_PGM_RSRC2:TGID_X_EN: 1
; COMPUTE_PGM_RSRC2:TGID_Y_EN: 0
; COMPUTE_PGM_RSRC2:TGID_Z_EN: 0
; COMPUTE_PGM_RSRC2:TIDIG_COMP_CNT: 0
	.text
	.p2alignl 6, 3214868480
	.fill 48, 4, 3214868480
	.type	__hip_cuid_ea2dc9cbccda1c4e,@object ; @__hip_cuid_ea2dc9cbccda1c4e
	.section	.bss,"aw",@nobits
	.globl	__hip_cuid_ea2dc9cbccda1c4e
__hip_cuid_ea2dc9cbccda1c4e:
	.byte	0                               ; 0x0
	.size	__hip_cuid_ea2dc9cbccda1c4e, 1

	.ident	"AMD clang version 19.0.0git (https://github.com/RadeonOpenCompute/llvm-project roc-6.4.0 25133 c7fe45cf4b819c5991fe208aaa96edf142730f1d)"
	.section	".note.GNU-stack","",@progbits
	.addrsig
	.addrsig_sym __hip_cuid_ea2dc9cbccda1c4e
	.amdgpu_metadata
---
amdhsa.kernels:
  - .args:
      - .actual_access:  read_only
        .address_space:  global
        .offset:         0
        .size:           8
        .value_kind:     global_buffer
      - .offset:         8
        .size:           8
        .value_kind:     by_value
      - .actual_access:  read_only
        .address_space:  global
        .offset:         16
        .size:           8
        .value_kind:     global_buffer
      - .actual_access:  read_only
        .address_space:  global
        .offset:         24
        .size:           8
        .value_kind:     global_buffer
      - .actual_access:  read_only
        .address_space:  global
        .offset:         32
        .size:           8
        .value_kind:     global_buffer
      - .offset:         40
        .size:           8
        .value_kind:     by_value
      - .actual_access:  read_only
        .address_space:  global
        .offset:         48
        .size:           8
        .value_kind:     global_buffer
      - .actual_access:  read_only
        .address_space:  global
        .offset:         56
        .size:           8
        .value_kind:     global_buffer
      - .offset:         64
        .size:           4
        .value_kind:     by_value
      - .actual_access:  read_only
        .address_space:  global
        .offset:         72
        .size:           8
        .value_kind:     global_buffer
      - .actual_access:  read_only
        .address_space:  global
        .offset:         80
        .size:           8
        .value_kind:     global_buffer
      - .actual_access:  read_only
        .address_space:  global
        .offset:         88
        .size:           8
        .value_kind:     global_buffer
      - .actual_access:  write_only
        .address_space:  global
        .offset:         96
        .size:           8
        .value_kind:     global_buffer
    .group_segment_fixed_size: 0
    .kernarg_segment_align: 8
    .kernarg_segment_size: 104
    .language:       OpenCL C
    .language_version:
      - 2
      - 0
    .max_flat_workgroup_size: 189
    .name:           fft_rtc_fwd_len1323_factors_3_3_3_7_7_wgs_189_tpt_189_sp_op_CI_CI_unitstride_sbrr_dirReg
    .private_segment_fixed_size: 0
    .sgpr_count:     29
    .sgpr_spill_count: 0
    .symbol:         fft_rtc_fwd_len1323_factors_3_3_3_7_7_wgs_189_tpt_189_sp_op_CI_CI_unitstride_sbrr_dirReg.kd
    .uniform_work_group_size: 1
    .uses_dynamic_stack: false
    .vgpr_count:     51
    .vgpr_spill_count: 0
    .wavefront_size: 32
    .workgroup_processor_mode: 1
amdhsa.target:   amdgcn-amd-amdhsa--gfx1030
amdhsa.version:
  - 1
  - 2
...

	.end_amdgpu_metadata
